;; amdgpu-corpus repo=ROCm/rocFFT kind=compiled arch=gfx1030 opt=O3
	.text
	.amdgcn_target "amdgcn-amd-amdhsa--gfx1030"
	.amdhsa_code_object_version 6
	.protected	fft_rtc_back_len336_factors_6_7_8_wgs_336_tpt_56_dp_op_CI_CI_sbcc_dirReg_intrinsicRead ; -- Begin function fft_rtc_back_len336_factors_6_7_8_wgs_336_tpt_56_dp_op_CI_CI_sbcc_dirReg_intrinsicRead
	.globl	fft_rtc_back_len336_factors_6_7_8_wgs_336_tpt_56_dp_op_CI_CI_sbcc_dirReg_intrinsicRead
	.p2align	8
	.type	fft_rtc_back_len336_factors_6_7_8_wgs_336_tpt_56_dp_op_CI_CI_sbcc_dirReg_intrinsicRead,@function
fft_rtc_back_len336_factors_6_7_8_wgs_336_tpt_56_dp_op_CI_CI_sbcc_dirReg_intrinsicRead: ; @fft_rtc_back_len336_factors_6_7_8_wgs_336_tpt_56_dp_op_CI_CI_sbcc_dirReg_intrinsicRead
; %bb.0:
	s_clause 0x1
	s_load_dwordx4 s[12:15], s[4:5], 0x18
	s_load_dwordx2 s[26:27], s[4:5], 0x28
	s_mov_b64 s[20:21], 0
	s_waitcnt lgkmcnt(0)
	s_load_dwordx2 s[24:25], s[12:13], 0x8
	s_waitcnt lgkmcnt(0)
	s_add_u32 s0, s24, -1
	s_addc_u32 s1, s25, -1
	s_add_u32 s2, 0, 0xaaa80000
	s_addc_u32 s3, 0, 0xaa
	s_mul_hi_u32 s8, s2, -6
	s_add_i32 s3, s3, 0x2aaaaa00
	s_sub_i32 s8, s8, s2
	s_mul_i32 s10, s3, -6
	s_mul_i32 s7, s2, -6
	s_add_i32 s8, s8, s10
	s_mul_hi_u32 s9, s2, s7
	s_mul_i32 s16, s2, s8
	s_mul_hi_u32 s10, s2, s8
	s_mul_hi_u32 s11, s3, s7
	s_mul_i32 s7, s3, s7
	s_add_u32 s9, s9, s16
	s_addc_u32 s10, 0, s10
	s_mul_hi_u32 s17, s3, s8
	s_add_u32 s7, s9, s7
	s_mul_i32 s8, s3, s8
	s_addc_u32 s7, s10, s11
	s_addc_u32 s9, s17, 0
	s_add_u32 s7, s7, s8
	v_add_co_u32 v1, s2, s2, s7
	s_addc_u32 s7, 0, s9
	s_cmp_lg_u32 s2, 0
	s_addc_u32 s2, s3, s7
	v_readfirstlane_b32 s3, v1
	s_mul_i32 s8, s0, s2
	s_mul_hi_u32 s7, s0, s2
	s_mul_hi_u32 s9, s1, s2
	s_mul_i32 s2, s1, s2
	s_mul_hi_u32 s10, s0, s3
	s_mul_hi_u32 s11, s1, s3
	s_mul_i32 s3, s1, s3
	s_add_u32 s8, s10, s8
	s_addc_u32 s7, 0, s7
	s_add_u32 s3, s8, s3
	s_addc_u32 s3, s7, s11
	s_addc_u32 s7, s9, 0
	s_add_u32 s2, s3, s2
	s_addc_u32 s3, 0, s7
	s_mul_i32 s8, s2, 6
	s_add_u32 s7, s2, 1
	v_sub_co_u32 v1, s0, s0, s8
	s_mul_hi_u32 s8, s2, 6
	s_addc_u32 s9, s3, 0
	s_mul_i32 s10, s3, 6
	v_sub_co_u32 v2, s11, v1, 6
	s_add_u32 s16, s2, 2
	s_addc_u32 s17, s3, 0
	s_add_i32 s8, s8, s10
	s_cmp_lg_u32 s0, 0
	v_readfirstlane_b32 s0, v2
	s_subb_u32 s1, s1, s8
	s_cmp_lg_u32 s11, 0
	s_subb_u32 s8, s1, 0
	s_cmp_gt_u32 s0, 5
	s_cselect_b32 s0, -1, 0
	s_cmp_eq_u32 s8, 0
	v_readfirstlane_b32 s8, v1
	s_cselect_b32 s0, s0, -1
	s_cmp_lg_u32 s0, 0
	s_cselect_b32 s0, s16, s7
	s_cselect_b32 s9, s17, s9
	s_cmp_gt_u32 s8, 5
	s_cselect_b32 s7, -1, 0
	s_cmp_eq_u32 s1, 0
	s_cselect_b32 s1, s7, -1
	s_mov_b32 s7, 0
	s_cmp_lg_u32 s1, 0
	s_cselect_b32 s0, s0, s2
	s_cselect_b32 s1, s9, s3
	s_add_u32 s28, s0, 1
	s_addc_u32 s29, s1, 0
	v_cmp_lt_u64_e64 s0, s[6:7], s[28:29]
	s_and_b32 vcc_lo, exec_lo, s0
	s_cbranch_vccnz .LBB0_2
; %bb.1:
	v_cvt_f32_u32_e32 v1, s28
	s_sub_i32 s1, 0, s28
	s_mov_b32 s21, s7
	v_rcp_iflag_f32_e32 v1, v1
	v_mul_f32_e32 v1, 0x4f7ffffe, v1
	v_cvt_u32_f32_e32 v1, v1
	v_readfirstlane_b32 s0, v1
	s_mul_i32 s1, s1, s0
	s_mul_hi_u32 s1, s0, s1
	s_add_i32 s0, s0, s1
	s_mul_hi_u32 s0, s6, s0
	s_mul_i32 s1, s0, s28
	s_add_i32 s2, s0, 1
	s_sub_i32 s1, s6, s1
	s_sub_i32 s3, s1, s28
	s_cmp_ge_u32 s1, s28
	s_cselect_b32 s0, s2, s0
	s_cselect_b32 s1, s3, s1
	s_add_i32 s2, s0, 1
	s_cmp_ge_u32 s1, s28
	s_cselect_b32 s20, s2, s0
.LBB0_2:
	s_load_dwordx4 s[16:19], s[14:15], 0x0
	s_load_dwordx4 s[8:11], s[26:27], 0x0
	s_clause 0x1
	s_load_dwordx2 s[30:31], s[4:5], 0x10
	s_load_dwordx2 s[22:23], s[4:5], 0x0
	s_mul_i32 s0, s20, s29
	s_mul_hi_u32 s1, s20, s28
	s_mul_i32 s2, s20, s28
	s_add_i32 s1, s1, s0
	s_sub_u32 s44, s6, s2
	s_subb_u32 s0, 0, s1
	s_mul_hi_u32 s33, s44, 6
	s_waitcnt lgkmcnt(0)
	s_mul_i32 s17, s0, 6
	s_load_dwordx4 s[0:3], s[4:5], 0x60
	s_add_i32 s33, s33, s17
	s_mul_i32 s44, s44, 6
	s_mul_i32 s4, s18, s33
	s_mul_hi_u32 s5, s18, s44
	v_cmp_lt_u64_e64 s36, s[30:31], 3
	s_mul_i32 s17, s19, s44
	s_mul_i32 s19, s10, s33
	s_mul_hi_u32 s34, s10, s44
	s_mul_i32 s35, s11, s44
	s_add_i32 s4, s5, s4
	s_add_i32 s5, s34, s19
	;; [unrolled: 1-line block ×3, first 2 shown]
	s_mul_i32 s45, s18, s44
	s_add_i32 s17, s5, s35
	s_and_b32 vcc_lo, exec_lo, s36
	s_mul_i32 s19, s10, s44
	s_cbranch_vccnz .LBB0_12
; %bb.3:
	s_add_u32 s4, s26, 16
	s_addc_u32 s5, s27, 0
	s_add_u32 s34, s14, 16
	s_addc_u32 s35, s15, 0
	;; [unrolled: 2-line block ×3, first 2 shown]
	s_mov_b64 s[36:37], 2
	s_mov_b32 s38, 0
.LBB0_4:                                ; =>This Inner Loop Header: Depth=1
	s_load_dwordx2 s[40:41], s[12:13], 0x0
	s_waitcnt lgkmcnt(0)
	s_or_b64 s[42:43], s[20:21], s[40:41]
	s_mov_b32 s39, s43
                                        ; implicit-def: $sgpr42_sgpr43
	s_cmp_lg_u64 s[38:39], 0
	s_mov_b32 s39, -1
	s_cbranch_scc0 .LBB0_6
; %bb.5:                                ;   in Loop: Header=BB0_4 Depth=1
	v_cvt_f32_u32_e32 v1, s40
	v_cvt_f32_u32_e32 v2, s41
	s_sub_u32 s43, 0, s40
	s_subb_u32 s47, 0, s41
	v_fmac_f32_e32 v1, 0x4f800000, v2
	v_rcp_f32_e32 v1, v1
	v_mul_f32_e32 v1, 0x5f7ffffc, v1
	v_mul_f32_e32 v2, 0x2f800000, v1
	v_trunc_f32_e32 v2, v2
	v_fmac_f32_e32 v1, 0xcf800000, v2
	v_cvt_u32_f32_e32 v2, v2
	v_cvt_u32_f32_e32 v1, v1
	v_readfirstlane_b32 s39, v2
	v_readfirstlane_b32 s42, v1
	s_mul_i32 s48, s43, s39
	s_mul_hi_u32 s50, s43, s42
	s_mul_i32 s49, s47, s42
	s_add_i32 s48, s50, s48
	s_mul_i32 s51, s43, s42
	s_add_i32 s48, s48, s49
	s_mul_hi_u32 s50, s42, s51
	s_mul_hi_u32 s52, s39, s51
	s_mul_i32 s49, s39, s51
	s_mul_hi_u32 s51, s42, s48
	s_mul_i32 s42, s42, s48
	s_mul_hi_u32 s53, s39, s48
	s_add_u32 s42, s50, s42
	s_addc_u32 s50, 0, s51
	s_add_u32 s42, s42, s49
	s_mul_i32 s48, s39, s48
	s_addc_u32 s42, s50, s52
	s_addc_u32 s49, s53, 0
	s_add_u32 s42, s42, s48
	s_addc_u32 s48, 0, s49
	v_add_co_u32 v1, s42, v1, s42
	s_cmp_lg_u32 s42, 0
	s_addc_u32 s39, s39, s48
	v_readfirstlane_b32 s42, v1
	s_mul_i32 s48, s43, s39
	s_mul_hi_u32 s49, s43, s42
	s_mul_i32 s47, s47, s42
	s_add_i32 s48, s49, s48
	s_mul_i32 s43, s43, s42
	s_add_i32 s48, s48, s47
	s_mul_hi_u32 s49, s39, s43
	s_mul_i32 s50, s39, s43
	s_mul_hi_u32 s43, s42, s43
	s_mul_hi_u32 s51, s42, s48
	s_mul_i32 s42, s42, s48
	s_mul_hi_u32 s47, s39, s48
	s_add_u32 s42, s43, s42
	s_addc_u32 s43, 0, s51
	s_add_u32 s42, s42, s50
	s_mul_i32 s48, s39, s48
	s_addc_u32 s42, s43, s49
	s_addc_u32 s43, s47, 0
	s_add_u32 s42, s42, s48
	s_addc_u32 s43, 0, s43
	v_add_co_u32 v1, s42, v1, s42
	s_cmp_lg_u32 s42, 0
	s_addc_u32 s39, s39, s43
	v_readfirstlane_b32 s42, v1
	s_mul_i32 s47, s20, s39
	s_mul_hi_u32 s43, s20, s39
	s_mul_hi_u32 s48, s21, s39
	s_mul_i32 s39, s21, s39
	s_mul_hi_u32 s49, s20, s42
	s_mul_hi_u32 s50, s21, s42
	s_mul_i32 s42, s21, s42
	s_add_u32 s47, s49, s47
	s_addc_u32 s43, 0, s43
	s_add_u32 s42, s47, s42
	s_addc_u32 s42, s43, s50
	s_addc_u32 s43, s48, 0
	s_add_u32 s42, s42, s39
	s_addc_u32 s43, 0, s43
	s_mul_hi_u32 s39, s40, s42
	s_mul_i32 s48, s40, s43
	s_mul_i32 s49, s40, s42
	s_add_i32 s39, s39, s48
	v_sub_co_u32 v1, s48, s20, s49
	s_mul_i32 s47, s41, s42
	s_add_i32 s39, s39, s47
	v_sub_co_u32 v2, s49, v1, s40
	s_sub_i32 s47, s21, s39
	s_cmp_lg_u32 s48, 0
	s_subb_u32 s47, s47, s41
	s_cmp_lg_u32 s49, 0
	v_readfirstlane_b32 s49, v2
	s_subb_u32 s47, s47, 0
	s_cmp_ge_u32 s47, s41
	s_cselect_b32 s50, -1, 0
	s_cmp_ge_u32 s49, s40
	s_cselect_b32 s49, -1, 0
	s_cmp_eq_u32 s47, s41
	s_cselect_b32 s47, s49, s50
	s_add_u32 s49, s42, 1
	s_addc_u32 s50, s43, 0
	s_add_u32 s51, s42, 2
	s_addc_u32 s52, s43, 0
	s_cmp_lg_u32 s47, 0
	s_cselect_b32 s47, s51, s49
	s_cselect_b32 s49, s52, s50
	s_cmp_lg_u32 s48, 0
	v_readfirstlane_b32 s48, v1
	s_subb_u32 s39, s21, s39
	s_cmp_ge_u32 s39, s41
	s_cselect_b32 s50, -1, 0
	s_cmp_ge_u32 s48, s40
	s_cselect_b32 s48, -1, 0
	s_cmp_eq_u32 s39, s41
	s_cselect_b32 s39, s48, s50
	s_cmp_lg_u32 s39, 0
	s_mov_b32 s39, 0
	s_cselect_b32 s43, s49, s43
	s_cselect_b32 s42, s47, s42
.LBB0_6:                                ;   in Loop: Header=BB0_4 Depth=1
	s_andn2_b32 vcc_lo, exec_lo, s39
	s_cbranch_vccnz .LBB0_8
; %bb.7:                                ;   in Loop: Header=BB0_4 Depth=1
	v_cvt_f32_u32_e32 v1, s40
	s_sub_i32 s42, 0, s40
	v_rcp_iflag_f32_e32 v1, v1
	v_mul_f32_e32 v1, 0x4f7ffffe, v1
	v_cvt_u32_f32_e32 v1, v1
	v_readfirstlane_b32 s39, v1
	s_mul_i32 s42, s42, s39
	s_mul_hi_u32 s42, s39, s42
	s_add_i32 s39, s39, s42
	s_mul_hi_u32 s39, s20, s39
	s_mul_i32 s42, s39, s40
	s_add_i32 s43, s39, 1
	s_sub_i32 s42, s20, s42
	s_sub_i32 s47, s42, s40
	s_cmp_ge_u32 s42, s40
	s_cselect_b32 s39, s43, s39
	s_cselect_b32 s42, s47, s42
	s_add_i32 s43, s39, 1
	s_cmp_ge_u32 s42, s40
	s_cselect_b32 s42, s43, s39
	s_mov_b32 s43, s38
.LBB0_8:                                ;   in Loop: Header=BB0_4 Depth=1
	s_load_dwordx2 s[48:49], s[34:35], 0x0
	s_load_dwordx2 s[50:51], s[4:5], 0x0
	s_mul_i32 s29, s40, s29
	s_mul_hi_u32 s39, s40, s28
	s_mul_i32 s47, s41, s28
	s_mul_i32 s41, s42, s41
	s_mul_hi_u32 s52, s42, s40
	s_mul_i32 s53, s43, s40
	s_add_i32 s29, s39, s29
	s_add_i32 s39, s52, s41
	s_mul_i32 s54, s42, s40
	s_add_i32 s29, s29, s47
	s_add_i32 s39, s39, s53
	s_sub_u32 s20, s20, s54
	s_subb_u32 s21, s21, s39
	s_mul_i32 s28, s40, s28
	s_waitcnt lgkmcnt(0)
	s_mul_i32 s39, s48, s21
	s_mul_hi_u32 s41, s48, s20
	s_mul_i32 s47, s49, s20
	s_add_i32 s39, s41, s39
	s_mul_i32 s48, s48, s20
	s_mul_i32 s21, s50, s21
	s_mul_hi_u32 s41, s50, s20
	s_add_i32 s39, s39, s47
	s_add_u32 s45, s48, s45
	s_addc_u32 s46, s39, s46
	s_add_i32 s21, s41, s21
	s_mul_i32 s39, s51, s20
	s_mul_i32 s20, s50, s20
	s_add_i32 s21, s21, s39
	s_add_u32 s19, s20, s19
	s_addc_u32 s17, s21, s17
	s_add_u32 s36, s36, 1
	s_addc_u32 s37, s37, 0
	s_add_u32 s4, s4, 8
	v_cmp_ge_u64_e64 s20, s[36:37], s[30:31]
	s_addc_u32 s5, s5, 0
	s_add_u32 s34, s34, 8
	s_addc_u32 s35, s35, 0
	s_add_u32 s12, s12, 8
	s_addc_u32 s13, s13, 0
	s_and_b32 vcc_lo, exec_lo, s20
	s_cbranch_vccnz .LBB0_10
; %bb.9:                                ;   in Loop: Header=BB0_4 Depth=1
	s_mov_b64 s[20:21], s[42:43]
	s_branch .LBB0_4
.LBB0_10:
	v_cmp_lt_u64_e64 s4, s[6:7], s[28:29]
	s_mov_b64 s[20:21], 0
	s_and_b32 vcc_lo, exec_lo, s4
	s_cbranch_vccnz .LBB0_12
; %bb.11:
	v_cvt_f32_u32_e32 v1, s28
	s_sub_i32 s5, 0, s28
	v_rcp_iflag_f32_e32 v1, v1
	v_mul_f32_e32 v1, 0x4f7ffffe, v1
	v_cvt_u32_f32_e32 v1, v1
	v_readfirstlane_b32 s4, v1
	s_mul_i32 s5, s5, s4
	s_mul_hi_u32 s5, s4, s5
	s_add_i32 s4, s4, s5
	s_mul_hi_u32 s4, s6, s4
	s_mul_i32 s5, s4, s28
	s_sub_i32 s5, s6, s5
	s_add_i32 s6, s4, 1
	s_sub_i32 s7, s5, s28
	s_cmp_ge_u32 s5, s28
	s_cselect_b32 s4, s6, s4
	s_cselect_b32 s5, s7, s5
	s_add_i32 s6, s4, 1
	s_cmp_ge_u32 s5, s28
	s_cselect_b32 s20, s6, s4
.LBB0_12:
	s_lshl_b64 s[4:5], s[30:31], 3
	v_mul_u32_u24_e32 v1, 0x2aab, v0
	s_add_u32 s6, s14, s4
	s_addc_u32 s7, s15, s5
	s_waitcnt lgkmcnt(0)
	s_mov_b32 s12, s0
	s_load_dword s6, s[6:7], 0x0
	v_lshrrev_b32_e32 v34, 16, v1
	s_mov_b32 s15, 0x31014000
	s_mov_b32 s14, -2
	s_mov_b32 s13, s1
	v_mul_lo_u16 v1, v34, 6
	v_add_nc_u32_e32 v33, 0xa8, v34
	v_add_nc_u32_e32 v2, 0x118, v34
	v_mul_lo_u32 v3, s16, v34
	v_add_nc_u32_e32 v9, 56, v34
	v_sub_nc_u16 v1, v0, v1
	v_mul_lo_u32 v4, s16, v33
	v_mul_lo_u32 v5, s16, v2
	v_add_nc_u32_e32 v10, 0x70, v34
	v_mul_lo_u32 v9, s16, v9
	v_and_b32_e32 v35, 0xffff, v1
	v_add_nc_u32_e32 v11, 0xe0, v34
	v_mul_lo_u32 v14, s16, v10
	s_waitcnt lgkmcnt(0)
	s_mul_i32 s6, s6, s20
	v_add_co_u32 v1, s7, s44, v35
	v_mul_lo_u32 v13, s18, v35
	s_add_i32 s18, s6, s45
	v_add_co_ci_u32_e64 v2, null, s33, 0, s7
	s_add_u32 s4, s26, s4
	s_addc_u32 s5, s27, s5
	s_add_u32 s6, s44, 6
	s_addc_u32 s7, s33, 0
	v_cmp_gt_u64_e32 vcc_lo, s[24:25], v[1:2]
	v_cmp_le_u64_e64 s6, s[6:7], s[24:25]
	v_add_lshl_u32 v1, v13, v3, 4
	v_add_lshl_u32 v2, v13, v4, 4
	;; [unrolled: 1-line block ×3, first 2 shown]
	s_lshl_b32 s1, s18, 4
	v_add_lshl_u32 v9, v13, v9, 4
	s_or_b32 s0, s6, vcc_lo
	v_mul_lo_u32 v15, s16, v11
	v_cndmask_b32_e64 v21, -1, v1, s0
	v_cndmask_b32_e64 v1, -1, v2, s0
	;; [unrolled: 1-line block ×3, first 2 shown]
	s_clause 0x1
	buffer_load_dwordx4 v[1:4], v1, s[12:15], s1 offen
	buffer_load_dwordx4 v[5:8], v5, s[12:15], s1 offen
	v_cndmask_b32_e64 v9, -1, v9, s0
	v_add_lshl_u32 v14, v13, v14, 4
	v_add_lshl_u32 v13, v13, v15, 4
	buffer_load_dwordx4 v[9:12], v9, s[12:15], s1 offen
	v_cndmask_b32_e64 v14, -1, v14, s0
	v_cndmask_b32_e64 v17, -1, v13, s0
	s_clause 0x2
	buffer_load_dwordx4 v[13:16], v14, s[12:15], s1 offen
	buffer_load_dwordx4 v[17:20], v17, s[12:15], s1 offen
	buffer_load_dwordx4 v[21:24], v21, s[12:15], s1 offen
	s_mov_b32 s0, 0xe8584caa
	s_mov_b32 s1, 0xbfebb67a
	;; [unrolled: 1-line block ×4, first 2 shown]
	s_load_dwordx2 s[4:5], s[4:5], 0x0
	s_waitcnt vmcnt(4)
	v_add_f64 v[25:26], v[3:4], v[7:8]
	v_add_f64 v[27:28], v[1:2], v[5:6]
	v_add_f64 v[29:30], v[1:2], -v[5:6]
	v_add_f64 v[38:39], v[3:4], -v[7:8]
	s_waitcnt vmcnt(3)
	v_add_f64 v[1:2], v[9:10], v[1:2]
	v_add_f64 v[3:4], v[11:12], v[3:4]
	s_waitcnt vmcnt(1)
	v_add_f64 v[31:32], v[13:14], v[17:18]
	v_add_f64 v[36:37], v[15:16], v[19:20]
	v_add_f64 v[42:43], v[15:16], -v[19:20]
	s_waitcnt vmcnt(0)
	v_add_f64 v[15:16], v[23:24], v[15:16]
	v_fma_f64 v[25:26], v[25:26], -0.5, v[11:12]
	v_fma_f64 v[27:28], v[27:28], -0.5, v[9:10]
	v_add_f64 v[5:6], v[1:2], v[5:6]
	v_add_f64 v[7:8], v[3:4], v[7:8]
	v_fma_f64 v[9:10], v[31:32], -0.5, v[21:22]
	v_fma_f64 v[11:12], v[36:37], -0.5, v[23:24]
	v_add_f64 v[15:16], v[15:16], v[19:20]
	v_fma_f64 v[40:41], v[29:30], s[12:13], v[25:26]
	v_fma_f64 v[25:26], v[29:30], s[0:1], v[25:26]
	v_add_f64 v[29:30], v[21:22], v[13:14]
	v_add_f64 v[13:14], v[13:14], -v[17:18]
	v_fma_f64 v[21:22], v[38:39], s[0:1], v[27:28]
	v_fma_f64 v[23:24], v[38:39], s[12:13], v[27:28]
	;; [unrolled: 1-line block ×3, first 2 shown]
	v_add_f64 v[3:4], v[15:16], v[7:8]
	v_add_f64 v[7:8], v[15:16], -v[7:8]
	v_mul_f64 v[27:28], v[40:41], s[0:1]
	v_mul_f64 v[31:32], v[25:26], s[0:1]
	v_mul_f64 v[36:37], v[40:41], 0.5
	v_mul_f64 v[25:26], v[25:26], -0.5
	v_add_f64 v[17:18], v[29:30], v[17:18]
	v_fma_f64 v[29:30], v[42:43], s[0:1], v[9:10]
	v_fma_f64 v[40:41], v[13:14], s[12:13], v[11:12]
	v_fma_f64 v[42:43], v[13:14], s[0:1], v[11:12]
	v_cmp_gt_u32_e64 s0, 0x120, v0
	v_fma_f64 v[13:14], v[21:22], 0.5, v[27:28]
	v_fma_f64 v[27:28], v[23:24], -0.5, v[31:32]
	v_fma_f64 v[31:32], v[21:22], s[12:13], v[36:37]
	v_fma_f64 v[23:24], v[23:24], s[12:13], v[25:26]
	v_add_f64 v[1:2], v[17:18], v[5:6]
	v_add_f64 v[5:6], v[17:18], -v[5:6]
	v_mad_u32_u24 v25, 0x240, v34, 0
	v_add_f64 v[17:18], v[29:30], v[13:14]
	v_add_f64 v[9:10], v[38:39], v[27:28]
	;; [unrolled: 1-line block ×4, first 2 shown]
	v_add_f64 v[13:14], v[29:30], -v[13:14]
	v_add_f64 v[21:22], v[38:39], -v[27:28]
	;; [unrolled: 1-line block ×4, first 2 shown]
	v_lshl_add_u32 v28, v35, 4, v25
	v_lshlrev_b32_e32 v29, 4, v35
                                        ; kill: def $vgpr26_vgpr27 killed $sgpr0_sgpr1 killed $exec
	ds_write_b128 v28, v[1:4]
	ds_write_b128 v28, v[5:8] offset:288
	ds_write_b128 v28, v[17:20] offset:96
	;; [unrolled: 1-line block ×5, first 2 shown]
	s_waitcnt lgkmcnt(0)
	s_barrier
	buffer_gl0_inv
                                        ; implicit-def: $vgpr27_vgpr28
	s_and_saveexec_b32 s1, s0
	s_cbranch_execz .LBB0_14
; %bb.13:
	v_mul_i32_i24_e32 v1, 0xfffffe20, v34
	v_add3_u32 v25, v25, v1, v29
	ds_read_b128 v[1:4], v25
	ds_read_b128 v[17:20], v25 offset:4608
	ds_read_b128 v[9:12], v25 offset:9216
	;; [unrolled: 1-line block ×6, first 2 shown]
.LBB0_14:
	s_or_b32 exec_lo, exec_lo, s1
	v_mul_lo_u16 v30, v34, 43
	s_mov_b32 s12, 0x37e14327
	s_mov_b32 s13, 0x3fe948f6
	;; [unrolled: 1-line block ×4, first 2 shown]
	v_lshrrev_b16 v30, 8, v30
	s_mov_b32 s15, 0x3fac98ee
	s_mov_b32 s25, 0x3fe11646
	;; [unrolled: 1-line block ×4, first 2 shown]
	v_mul_lo_u16 v31, v30, 6
	s_mov_b32 s29, 0xbfd5d0dc
	s_mov_b32 s28, 0xb247c609
	v_sub_nc_u16 v31, v34, v31
	v_and_b32_e32 v31, 0xff, v31
	v_mul_u32_u24_e32 v32, 6, v31
	v_lshlrev_b32_e32 v32, 4, v32
	s_clause 0x5
	global_load_dwordx4 v[36:39], v32, s[22:23]
	global_load_dwordx4 v[40:43], v32, s[22:23] offset:16
	global_load_dwordx4 v[44:47], v32, s[22:23] offset:80
	;; [unrolled: 1-line block ×5, first 2 shown]
	s_waitcnt vmcnt(0) lgkmcnt(0)
	s_barrier
	buffer_gl0_inv
	v_mul_f64 v[60:61], v[19:20], v[38:39]
	v_mul_f64 v[38:39], v[17:18], v[38:39]
	v_fma_f64 v[17:18], v[17:18], v[36:37], v[60:61]
	v_fma_f64 v[19:20], v[19:20], v[36:37], -v[38:39]
	v_mul_f64 v[36:37], v[11:12], v[42:43]
	v_mul_f64 v[38:39], v[9:10], v[42:43]
	v_mul_f64 v[42:43], v[27:28], v[46:47]
	v_mul_f64 v[46:47], v[25:26], v[46:47]
	v_fma_f64 v[9:10], v[9:10], v[40:41], v[36:37]
	v_fma_f64 v[11:12], v[11:12], v[40:41], -v[38:39]
	v_mul_f64 v[36:37], v[23:24], v[50:51]
	v_mul_f64 v[38:39], v[21:22], v[50:51]
	;; [unrolled: 6-line block ×3, first 2 shown]
	v_fma_f64 v[21:22], v[21:22], v[48:49], v[36:37]
	v_fma_f64 v[23:24], v[23:24], v[48:49], -v[38:39]
	v_fma_f64 v[5:6], v[5:6], v[52:53], v[40:41]
	v_fma_f64 v[7:8], v[7:8], v[52:53], -v[50:51]
	v_add_f64 v[36:37], v[17:18], v[25:26]
	v_add_f64 v[38:39], v[19:20], v[27:28]
	v_fma_f64 v[13:14], v[13:14], v[56:57], v[42:43]
	v_fma_f64 v[15:16], v[15:16], v[56:57], -v[44:45]
	v_add_f64 v[40:41], v[9:10], v[21:22]
	v_add_f64 v[42:43], v[11:12], v[23:24]
	v_add_f64 v[9:10], v[9:10], -v[21:22]
	v_add_f64 v[11:12], v[11:12], -v[23:24]
	v_add_f64 v[44:45], v[5:6], v[13:14]
	v_add_f64 v[46:47], v[7:8], v[15:16]
	v_add_f64 v[5:6], v[13:14], -v[5:6]
	v_add_f64 v[7:8], v[15:16], -v[7:8]
	;; [unrolled: 1-line block ×4, first 2 shown]
	v_add_f64 v[17:18], v[40:41], v[36:37]
	v_add_f64 v[19:20], v[42:43], v[38:39]
	v_add_f64 v[21:22], v[36:37], -v[44:45]
	v_add_f64 v[23:24], v[38:39], -v[46:47]
	;; [unrolled: 1-line block ×10, first 2 shown]
	v_add_f64 v[9:10], v[5:6], v[9:10]
	v_add_f64 v[11:12], v[7:8], v[11:12]
	v_add_f64 v[5:6], v[13:14], -v[5:6]
	v_add_f64 v[7:8], v[15:16], -v[7:8]
	v_add_f64 v[17:18], v[44:45], v[17:18]
	v_add_f64 v[19:20], v[46:47], v[19:20]
	v_mul_f64 v[21:22], v[21:22], s[12:13]
	v_mul_f64 v[23:24], v[23:24], s[12:13]
	s_mov_b32 s12, 0x429ad128
	v_mul_f64 v[40:41], v[25:26], s[14:15]
	v_mul_f64 v[42:43], v[27:28], s[14:15]
	;; [unrolled: 1-line block ×4, first 2 shown]
	s_mov_b32 s13, 0xbfebfeb5
	s_mov_b32 s24, 0xaaaaaaaa
	v_mul_f64 v[48:49], v[52:53], s[12:13]
	v_mul_f64 v[50:51], v[54:55], s[12:13]
	s_mov_b32 s25, 0xbff2aaaa
	v_add_f64 v[9:10], v[9:10], v[13:14]
	v_add_f64 v[11:12], v[11:12], v[15:16]
	;; [unrolled: 1-line block ×4, first 2 shown]
	v_fma_f64 v[13:14], v[25:26], s[14:15], v[21:22]
	v_fma_f64 v[15:16], v[27:28], s[14:15], v[23:24]
	v_fma_f64 v[25:26], v[36:37], s[26:27], -v[40:41]
	v_fma_f64 v[27:28], v[38:39], s[26:27], -v[42:43]
	s_mov_b32 s27, 0xbfe77f67
	v_fma_f64 v[40:41], v[5:6], s[28:29], v[44:45]
	v_fma_f64 v[42:43], v[7:8], s[28:29], v[46:47]
	s_mov_b32 s29, 0x3fd5d0dc
	v_fma_f64 v[44:45], v[52:53], s[12:13], -v[44:45]
	v_fma_f64 v[46:47], v[54:55], s[12:13], -v[46:47]
	;; [unrolled: 1-line block ×6, first 2 shown]
	s_mov_b32 s12, 0x37c3f68c
	v_fma_f64 v[17:18], v[17:18], s[24:25], v[1:2]
	v_fma_f64 v[19:20], v[19:20], s[24:25], v[3:4]
	s_mov_b32 s13, 0xbfdc38aa
	v_fma_f64 v[36:37], v[9:10], s[12:13], v[40:41]
	v_fma_f64 v[38:39], v[11:12], s[12:13], v[42:43]
	;; [unrolled: 1-line block ×6, first 2 shown]
	v_add_f64 v[48:49], v[13:14], v[17:18]
	v_add_f64 v[50:51], v[15:16], v[19:20]
	;; [unrolled: 1-line block ×7, first 2 shown]
	v_add_f64 v[11:12], v[50:51], -v[36:37]
	v_add_f64 v[21:22], v[46:47], v[13:14]
	v_add_f64 v[23:24], v[15:16], -v[44:45]
	v_add_f64 v[5:6], v[17:18], -v[42:43]
	v_add_f64 v[7:8], v[40:41], v[19:20]
	v_add_f64 v[17:18], v[42:43], v[17:18]
	v_add_f64 v[19:20], v[19:20], -v[40:41]
	v_add_f64 v[13:14], v[13:14], -v[46:47]
	v_add_f64 v[15:16], v[44:45], v[15:16]
	v_add_f64 v[25:26], v[48:49], -v[38:39]
	v_add_f64 v[27:28], v[36:37], v[50:51]
	s_and_saveexec_b32 s1, s0
	s_cbranch_execz .LBB0_16
; %bb.15:
	v_and_b32_e32 v30, 0xffff, v30
	v_mad_u32_u24 v30, v30, 42, v31
	v_mul_u32_u24_e32 v30, 0x60, v30
	v_add3_u32 v30, 0, v30, v29
	ds_write_b128 v30, v[1:4]
	ds_write_b128 v30, v[9:12] offset:576
	ds_write_b128 v30, v[21:24] offset:1152
	;; [unrolled: 1-line block ×6, first 2 shown]
.LBB0_16:
	s_or_b32 exec_lo, exec_lo, s1
	v_cmp_gt_u32_e64 s0, 0xfc, v0
                                        ; kill: def $vgpr30_vgpr31 killed $sgpr0_sgpr1 killed $exec
	s_waitcnt lgkmcnt(0)
	s_barrier
	buffer_gl0_inv
                                        ; implicit-def: $vgpr31_vgpr32
	s_and_saveexec_b32 s1, s0
	s_cbranch_execz .LBB0_18
; %bb.17:
	v_mul_u32_u24_e32 v0, 0x60, v34
	v_add3_u32 v0, 0, v0, v29
	ds_read_b128 v[1:4], v0
	ds_read_b128 v[9:12], v0 offset:4032
	ds_read_b128 v[21:24], v0 offset:8064
	;; [unrolled: 1-line block ×7, first 2 shown]
.LBB0_18:
	s_or_b32 exec_lo, exec_lo, s1
	v_mul_lo_u16 v0, v34, 49
	s_mov_b32 s12, 0x667f3bcd
	s_mov_b32 s13, 0xbfe6a09e
	;; [unrolled: 1-line block ×4, first 2 shown]
	v_lshrrev_b16 v0, 11, v0
	s_mul_i32 s1, s5, s20
	s_mul_hi_u32 s5, s4, s20
	s_add_i32 s5, s5, s1
	v_mul_lo_u16 v0, v0, 42
	s_mul_i32 s1, s4, s20
	s_add_u32 s4, s1, s19
	s_addc_u32 s5, s5, s17
	v_sub_nc_u16 v0, v34, v0
	s_and_b32 s1, s0, s6
	v_and_b32_e32 v0, 0xff, v0
	v_mad_u64_u32 v[52:53], null, 0x70, v0, s[22:23]
	s_clause 0x3
	global_load_dwordx4 v[36:39], v[52:53], off offset:576
	global_load_dwordx4 v[40:43], v[52:53], off offset:592
	;; [unrolled: 1-line block ×4, first 2 shown]
	s_waitcnt vmcnt(3) lgkmcnt(6)
	v_mul_f64 v[54:55], v[11:12], v[38:39]
	v_mul_f64 v[38:39], v[9:10], v[38:39]
	s_waitcnt vmcnt(2) lgkmcnt(5)
	v_mul_f64 v[56:57], v[23:24], v[42:43]
	v_mul_f64 v[42:43], v[21:22], v[42:43]
	v_fma_f64 v[54:55], v[9:10], v[36:37], v[54:55]
	v_fma_f64 v[58:59], v[11:12], v[36:37], -v[38:39]
	s_clause 0x1
	global_load_dwordx4 v[9:12], v[52:53], off offset:608
	global_load_dwordx4 v[36:39], v[52:53], off offset:640
	v_fma_f64 v[56:57], v[21:22], v[40:41], v[56:57]
	v_fma_f64 v[40:41], v[23:24], v[40:41], -v[42:43]
	global_load_dwordx4 v[21:24], v[52:53], off offset:672
	s_waitcnt vmcnt(4) lgkmcnt(3)
	v_mul_f64 v[42:43], v[19:20], v[46:47]
	v_mul_f64 v[46:47], v[17:18], v[46:47]
	s_waitcnt vmcnt(3) lgkmcnt(1)
	v_mul_f64 v[52:53], v[27:28], v[50:51]
	v_fma_f64 v[17:18], v[17:18], v[44:45], v[42:43]
	v_mul_f64 v[42:43], v[25:26], v[50:51]
	v_fma_f64 v[19:20], v[19:20], v[44:45], -v[46:47]
	v_fma_f64 v[25:26], v[25:26], v[48:49], v[52:53]
	v_add_f64 v[17:18], v[1:2], -v[17:18]
	v_fma_f64 v[27:28], v[27:28], v[48:49], -v[42:43]
	v_add_f64 v[19:20], v[3:4], -v[19:20]
	v_fma_f64 v[0:1], v[1:2], 2.0, -v[17:18]
	v_fma_f64 v[2:3], v[3:4], 2.0, -v[19:20]
	s_waitcnt vmcnt(2)
	v_mul_f64 v[44:45], v[7:8], v[11:12]
	s_waitcnt vmcnt(1)
	v_mul_f64 v[46:47], v[15:16], v[38:39]
	v_mul_f64 v[38:39], v[13:14], v[38:39]
	;; [unrolled: 1-line block ×3, first 2 shown]
	s_waitcnt vmcnt(0) lgkmcnt(0)
	v_mul_f64 v[42:43], v[31:32], v[23:24]
	v_mul_f64 v[23:24], v[29:30], v[23:24]
	v_fma_f64 v[5:6], v[5:6], v[9:10], v[44:45]
	v_fma_f64 v[13:14], v[13:14], v[36:37], v[46:47]
	v_fma_f64 v[15:16], v[15:16], v[36:37], -v[38:39]
	v_fma_f64 v[7:8], v[7:8], v[9:10], -v[11:12]
	v_fma_f64 v[9:10], v[29:30], v[21:22], v[42:43]
	v_fma_f64 v[11:12], v[31:32], v[21:22], -v[23:24]
	v_add_f64 v[21:22], v[56:57], -v[25:26]
	v_add_f64 v[23:24], v[40:41], -v[27:28]
	;; [unrolled: 1-line block ×6, first 2 shown]
	v_fma_f64 v[25:26], v[56:57], 2.0, -v[21:22]
	v_fma_f64 v[27:28], v[40:41], 2.0, -v[23:24]
	v_add_f64 v[36:37], v[17:18], v[23:24]
	v_add_f64 v[38:39], v[19:20], -v[21:22]
	v_fma_f64 v[29:30], v[54:55], 2.0, -v[13:14]
	v_fma_f64 v[31:32], v[58:59], 2.0, -v[15:16]
	;; [unrolled: 1-line block ×4, first 2 shown]
	v_add_f64 v[21:22], v[13:14], v[11:12]
	v_add_f64 v[8:9], v[15:16], -v[9:10]
	v_add_f64 v[23:24], v[0:1], -v[25:26]
	;; [unrolled: 1-line block ×3, first 2 shown]
	v_fma_f64 v[40:41], v[17:18], 2.0, -v[36:37]
	v_fma_f64 v[18:19], v[19:20], 2.0, -v[38:39]
	v_add_f64 v[10:11], v[29:30], -v[4:5]
	v_add_f64 v[4:5], v[31:32], -v[6:7]
	v_fma_f64 v[27:28], v[13:14], 2.0, -v[21:22]
	v_fma_f64 v[12:13], v[15:16], 2.0, -v[8:9]
	v_fma_f64 v[14:15], v[21:22], s[14:15], v[36:37]
	v_fma_f64 v[42:43], v[0:1], 2.0, -v[23:24]
	v_fma_f64 v[44:45], v[2:3], 2.0, -v[25:26]
	v_fma_f64 v[46:47], v[8:9], s[14:15], v[38:39]
	v_fma_f64 v[2:3], v[29:30], 2.0, -v[10:11]
	v_fma_f64 v[16:17], v[31:32], 2.0, -v[4:5]
	v_fma_f64 v[29:30], v[27:28], s[12:13], v[40:41]
	v_fma_f64 v[31:32], v[12:13], s[12:13], v[18:19]
	v_add_f64 v[4:5], v[23:24], v[4:5]
	v_add_f64 v[6:7], v[25:26], -v[10:11]
	v_fma_f64 v[0:1], v[8:9], s[14:15], v[14:15]
	v_add_f64 v[8:9], v[42:43], -v[2:3]
	v_add_f64 v[10:11], v[44:45], -v[16:17]
	v_fma_f64 v[12:13], v[12:13], s[14:15], v[29:30]
	v_fma_f64 v[14:15], v[27:28], s[12:13], v[31:32]
	;; [unrolled: 1-line block ×3, first 2 shown]
	v_fma_f64 v[20:21], v[23:24], 2.0, -v[4:5]
	v_fma_f64 v[22:23], v[25:26], 2.0, -v[6:7]
	;; [unrolled: 1-line block ×3, first 2 shown]
	v_add_nc_u32_e32 v37, 0xd2, v34
	v_add_nc_u32_e32 v36, 0xfc, v34
	;; [unrolled: 1-line block ×3, first 2 shown]
	v_fma_f64 v[28:29], v[42:43], 2.0, -v[8:9]
	v_fma_f64 v[30:31], v[44:45], 2.0, -v[10:11]
	;; [unrolled: 1-line block ×5, first 2 shown]
	v_add_nc_u32_e32 v39, 42, v34
	v_add_nc_u32_e32 v40, 0x54, v34
	;; [unrolled: 1-line block ×3, first 2 shown]
	s_and_saveexec_b32 s7, s1
	s_cbranch_execz .LBB0_20
; %bb.19:
	v_mad_u64_u32 v[41:42], null, s10, v35, 0
	v_mad_u64_u32 v[43:44], null, s8, v34, 0
	;; [unrolled: 1-line block ×3, first 2 shown]
	s_lshl_b64 s[12:13], s[4:5], 4
	s_add_u32 s1, s2, s12
	s_addc_u32 s12, s3, s13
	v_mad_u64_u32 v[47:48], null, s11, v35, v[42:43]
	v_mad_u64_u32 v[48:49], null, s8, v40, 0
	;; [unrolled: 1-line block ×4, first 2 shown]
	v_mov_b32_e32 v42, v47
	v_mov_b32_e32 v47, v49
	;; [unrolled: 1-line block ×3, first 2 shown]
	v_lshlrev_b64 v[41:42], 4, v[41:42]
	v_mad_u64_u32 v[49:50], null, s9, v39, v[46:47]
	v_lshlrev_b64 v[43:44], 4, v[43:44]
	v_mad_u64_u32 v[53:54], null, s9, v40, v[47:48]
	v_add_co_u32 v55, s1, s1, v41
	v_add_co_ci_u32_e64 v56, s1, s12, v42, s1
	v_mov_b32_e32 v46, v49
	v_add_co_u32 v41, s1, v55, v43
	v_add_co_ci_u32_e64 v42, s1, v56, v44, s1
	v_lshlrev_b64 v[43:44], 4, v[45:46]
	v_mov_b32_e32 v49, v53
	global_store_dwordx4 v[41:42], v[28:31], off
	v_mov_b32_e32 v41, v52
	v_add_co_u32 v42, s1, v55, v43
	v_add_co_ci_u32_e64 v43, s1, v56, v44, s1
	v_lshlrev_b64 v[44:45], 4, v[48:49]
	v_mad_u64_u32 v[46:47], null, s9, v38, v[41:42]
	v_mad_u64_u32 v[47:48], null, s8, v33, 0
	global_store_dwordx4 v[42:43], v[24:27], off
	v_add_co_u32 v44, s1, v55, v44
	v_mad_u64_u32 v[49:50], null, s8, v37, 0
	v_mov_b32_e32 v52, v46
	v_add_co_ci_u32_e64 v45, s1, v56, v45, s1
	v_mov_b32_e32 v41, v48
	v_lshlrev_b64 v[42:43], 4, v[51:52]
	global_store_dwordx4 v[44:45], v[20:23], off
	v_mov_b32_e32 v44, v50
	v_mad_u64_u32 v[51:52], null, s8, v36, 0
	v_mad_u64_u32 v[45:46], null, s9, v33, v[41:42]
	v_add_co_u32 v41, s1, v55, v42
	v_add_co_ci_u32_e64 v42, s1, v56, v43, s1
	v_mov_b32_e32 v46, v52
	v_mad_u64_u32 v[53:54], null, s9, v37, v[44:45]
	v_mad_u64_u32 v[43:44], null, s8, v32, 0
	global_store_dwordx4 v[41:42], v[16:19], off
	v_mov_b32_e32 v48, v45
	v_mad_u64_u32 v[45:46], null, s9, v36, v[46:47]
                                        ; kill: def $vgpr42 killed $sgpr0 killed $exec
	v_mov_b32_e32 v50, v53
	v_mov_b32_e32 v41, v44
	v_lshlrev_b64 v[46:47], 4, v[47:48]
	v_lshlrev_b64 v[48:49], 4, v[49:50]
	v_mov_b32_e32 v52, v45
	v_mad_u64_u32 v[41:42], null, s9, v32, v[41:42]
	v_add_co_u32 v45, s1, v55, v46
	v_lshlrev_b64 v[50:51], 4, v[51:52]
	v_add_co_ci_u32_e64 v46, s1, v56, v47, s1
	v_mov_b32_e32 v44, v41
	v_add_co_u32 v41, s1, v55, v48
	v_add_co_ci_u32_e64 v42, s1, v56, v49, s1
	v_lshlrev_b64 v[43:44], 4, v[43:44]
	v_add_co_u32 v47, s1, v55, v50
	v_add_co_ci_u32_e64 v48, s1, v56, v51, s1
	v_add_co_u32 v43, s1, v55, v43
	v_add_co_ci_u32_e64 v44, s1, v56, v44, s1
	global_store_dwordx4 v[45:46], v[8:11], off
	global_store_dwordx4 v[41:42], v[12:15], off
	;; [unrolled: 1-line block ×4, first 2 shown]
.LBB0_20:
	s_or_b32 exec_lo, exec_lo, s7
	s_xor_b32 s1, s6, -1
	s_and_b32 s0, s0, vcc_lo
	s_and_b32 s0, s1, s0
	s_and_saveexec_b32 s1, s0
	s_cbranch_execz .LBB0_22
; %bb.21:
	v_mad_u64_u32 v[41:42], null, s10, v35, 0
	v_mad_u64_u32 v[43:44], null, s8, v34, 0
	;; [unrolled: 1-line block ×3, first 2 shown]
	s_lshl_b64 s[0:1], s[4:5], 4
	v_mad_u64_u32 v[50:51], null, s8, v38, 0
	s_add_u32 s0, s2, s0
	v_mad_u64_u32 v[47:48], null, s11, v35, v[42:43]
	v_mad_u64_u32 v[48:49], null, s8, v40, 0
	;; [unrolled: 1-line block ×3, first 2 shown]
	v_mov_b32_e32 v35, v46
	s_addc_u32 s1, s3, s1
	v_mov_b32_e32 v42, v47
	v_mov_b32_e32 v46, v49
	;; [unrolled: 1-line block ×3, first 2 shown]
	v_lshlrev_b64 v[41:42], 4, v[41:42]
	v_mad_u64_u32 v[34:35], null, s9, v39, v[35:36]
	v_mad_u64_u32 v[39:40], null, s9, v40, v[46:47]
	v_lshlrev_b64 v[43:44], 4, v[43:44]
	v_add_co_u32 v47, vcc_lo, s0, v41
	v_add_co_ci_u32_e32 v42, vcc_lo, s1, v42, vcc_lo
	v_mov_b32_e32 v46, v34
	v_add_co_u32 v34, vcc_lo, v47, v43
	v_add_co_ci_u32_e32 v35, vcc_lo, v42, v44, vcc_lo
	v_mov_b32_e32 v49, v39
	v_lshlrev_b64 v[40:41], 4, v[45:46]
	global_store_dwordx4 v[34:35], v[28:31], off
	v_mov_b32_e32 v28, v51
	v_lshlrev_b64 v[34:35], 4, v[48:49]
	v_add_co_u32 v29, vcc_lo, v47, v40
	v_add_co_ci_u32_e32 v30, vcc_lo, v42, v41, vcc_lo
	v_add_co_u32 v34, vcc_lo, v47, v34
	v_mad_u64_u32 v[38:39], null, s9, v38, v[28:29]
	v_mad_u64_u32 v[39:40], null, s8, v33, 0
	v_add_co_ci_u32_e32 v35, vcc_lo, v42, v35, vcc_lo
	global_store_dwordx4 v[29:30], v[24:27], off
	v_mad_u64_u32 v[24:25], null, s8, v37, 0
	global_store_dwordx4 v[34:35], v[20:23], off
	v_mad_u64_u32 v[21:22], null, s8, v36, 0
	v_mov_b32_e32 v51, v38
	v_mov_b32_e32 v20, v40
	;; [unrolled: 1-line block ×3, first 2 shown]
	v_lshlrev_b64 v[25:26], 4, v[50:51]
	v_mad_u64_u32 v[27:28], null, s9, v33, v[20:21]
	v_mad_u64_u32 v[28:29], null, s9, v37, v[23:24]
	v_mov_b32_e32 v20, v22
	v_mad_u64_u32 v[29:30], null, s8, v32, 0
	v_add_co_u32 v22, vcc_lo, v47, v25
	v_add_co_ci_u32_e32 v23, vcc_lo, v42, v26, vcc_lo
	v_mov_b32_e32 v40, v27
	v_mov_b32_e32 v25, v28
	v_mad_u64_u32 v[26:27], null, s9, v36, v[20:21]
	global_store_dwordx4 v[22:23], v[16:19], off
	v_lshlrev_b64 v[17:18], 4, v[39:40]
	v_mov_b32_e32 v16, v30
	v_lshlrev_b64 v[19:20], 4, v[24:25]
	v_mov_b32_e32 v22, v26
	v_mad_u64_u32 v[23:24], null, s9, v32, v[16:17]
	v_add_co_u32 v16, vcc_lo, v47, v17
	v_lshlrev_b64 v[21:22], 4, v[21:22]
	v_add_co_ci_u32_e32 v17, vcc_lo, v42, v18, vcc_lo
	v_add_co_u32 v18, vcc_lo, v47, v19
	v_mov_b32_e32 v30, v23
	v_add_co_ci_u32_e32 v19, vcc_lo, v42, v20, vcc_lo
	v_add_co_u32 v20, vcc_lo, v47, v21
	v_lshlrev_b64 v[23:24], 4, v[29:30]
	v_add_co_ci_u32_e32 v21, vcc_lo, v42, v22, vcc_lo
	v_add_co_u32 v22, vcc_lo, v47, v23
	v_add_co_ci_u32_e32 v23, vcc_lo, v42, v24, vcc_lo
	global_store_dwordx4 v[16:17], v[8:11], off
	global_store_dwordx4 v[18:19], v[12:15], off
	global_store_dwordx4 v[20:21], v[4:7], off
	global_store_dwordx4 v[22:23], v[0:3], off
.LBB0_22:
	s_endpgm
	.section	.rodata,"a",@progbits
	.p2align	6, 0x0
	.amdhsa_kernel fft_rtc_back_len336_factors_6_7_8_wgs_336_tpt_56_dp_op_CI_CI_sbcc_dirReg_intrinsicRead
		.amdhsa_group_segment_fixed_size 0
		.amdhsa_private_segment_fixed_size 0
		.amdhsa_kernarg_size 112
		.amdhsa_user_sgpr_count 6
		.amdhsa_user_sgpr_private_segment_buffer 1
		.amdhsa_user_sgpr_dispatch_ptr 0
		.amdhsa_user_sgpr_queue_ptr 0
		.amdhsa_user_sgpr_kernarg_segment_ptr 1
		.amdhsa_user_sgpr_dispatch_id 0
		.amdhsa_user_sgpr_flat_scratch_init 0
		.amdhsa_user_sgpr_private_segment_size 0
		.amdhsa_wavefront_size32 1
		.amdhsa_uses_dynamic_stack 0
		.amdhsa_system_sgpr_private_segment_wavefront_offset 0
		.amdhsa_system_sgpr_workgroup_id_x 1
		.amdhsa_system_sgpr_workgroup_id_y 0
		.amdhsa_system_sgpr_workgroup_id_z 0
		.amdhsa_system_sgpr_workgroup_info 0
		.amdhsa_system_vgpr_workitem_id 0
		.amdhsa_next_free_vgpr 62
		.amdhsa_next_free_sgpr 55
		.amdhsa_reserve_vcc 1
		.amdhsa_reserve_flat_scratch 0
		.amdhsa_float_round_mode_32 0
		.amdhsa_float_round_mode_16_64 0
		.amdhsa_float_denorm_mode_32 3
		.amdhsa_float_denorm_mode_16_64 3
		.amdhsa_dx10_clamp 1
		.amdhsa_ieee_mode 1
		.amdhsa_fp16_overflow 0
		.amdhsa_workgroup_processor_mode 1
		.amdhsa_memory_ordered 1
		.amdhsa_forward_progress 0
		.amdhsa_shared_vgpr_count 0
		.amdhsa_exception_fp_ieee_invalid_op 0
		.amdhsa_exception_fp_denorm_src 0
		.amdhsa_exception_fp_ieee_div_zero 0
		.amdhsa_exception_fp_ieee_overflow 0
		.amdhsa_exception_fp_ieee_underflow 0
		.amdhsa_exception_fp_ieee_inexact 0
		.amdhsa_exception_int_div_zero 0
	.end_amdhsa_kernel
	.text
.Lfunc_end0:
	.size	fft_rtc_back_len336_factors_6_7_8_wgs_336_tpt_56_dp_op_CI_CI_sbcc_dirReg_intrinsicRead, .Lfunc_end0-fft_rtc_back_len336_factors_6_7_8_wgs_336_tpt_56_dp_op_CI_CI_sbcc_dirReg_intrinsicRead
                                        ; -- End function
	.section	.AMDGPU.csdata,"",@progbits
; Kernel info:
; codeLenInByte = 5776
; NumSgprs: 57
; NumVgprs: 62
; ScratchSize: 0
; MemoryBound: 0
; FloatMode: 240
; IeeeMode: 1
; LDSByteSize: 0 bytes/workgroup (compile time only)
; SGPRBlocks: 7
; VGPRBlocks: 7
; NumSGPRsForWavesPerEU: 57
; NumVGPRsForWavesPerEU: 62
; Occupancy: 14
; WaveLimiterHint : 1
; COMPUTE_PGM_RSRC2:SCRATCH_EN: 0
; COMPUTE_PGM_RSRC2:USER_SGPR: 6
; COMPUTE_PGM_RSRC2:TRAP_HANDLER: 0
; COMPUTE_PGM_RSRC2:TGID_X_EN: 1
; COMPUTE_PGM_RSRC2:TGID_Y_EN: 0
; COMPUTE_PGM_RSRC2:TGID_Z_EN: 0
; COMPUTE_PGM_RSRC2:TIDIG_COMP_CNT: 0
	.text
	.p2alignl 6, 3214868480
	.fill 48, 4, 3214868480
	.type	__hip_cuid_69fbd9755bac38f,@object ; @__hip_cuid_69fbd9755bac38f
	.section	.bss,"aw",@nobits
	.globl	__hip_cuid_69fbd9755bac38f
__hip_cuid_69fbd9755bac38f:
	.byte	0                               ; 0x0
	.size	__hip_cuid_69fbd9755bac38f, 1

	.ident	"AMD clang version 19.0.0git (https://github.com/RadeonOpenCompute/llvm-project roc-6.4.0 25133 c7fe45cf4b819c5991fe208aaa96edf142730f1d)"
	.section	".note.GNU-stack","",@progbits
	.addrsig
	.addrsig_sym __hip_cuid_69fbd9755bac38f
	.amdgpu_metadata
---
amdhsa.kernels:
  - .args:
      - .actual_access:  read_only
        .address_space:  global
        .offset:         0
        .size:           8
        .value_kind:     global_buffer
      - .address_space:  global
        .offset:         8
        .size:           8
        .value_kind:     global_buffer
      - .offset:         16
        .size:           8
        .value_kind:     by_value
      - .actual_access:  read_only
        .address_space:  global
        .offset:         24
        .size:           8
        .value_kind:     global_buffer
      - .actual_access:  read_only
        .address_space:  global
        .offset:         32
        .size:           8
        .value_kind:     global_buffer
      - .actual_access:  read_only
        .address_space:  global
        .offset:         40
        .size:           8
        .value_kind:     global_buffer
      - .offset:         48
        .size:           8
        .value_kind:     by_value
      - .actual_access:  read_only
        .address_space:  global
        .offset:         56
        .size:           8
        .value_kind:     global_buffer
      - .actual_access:  read_only
        .address_space:  global
        .offset:         64
        .size:           8
        .value_kind:     global_buffer
      - .offset:         72
        .size:           4
        .value_kind:     by_value
      - .actual_access:  read_only
        .address_space:  global
        .offset:         80
        .size:           8
        .value_kind:     global_buffer
      - .actual_access:  read_only
        .address_space:  global
        .offset:         88
        .size:           8
        .value_kind:     global_buffer
      - .address_space:  global
        .offset:         96
        .size:           8
        .value_kind:     global_buffer
      - .actual_access:  write_only
        .address_space:  global
        .offset:         104
        .size:           8
        .value_kind:     global_buffer
    .group_segment_fixed_size: 0
    .kernarg_segment_align: 8
    .kernarg_segment_size: 112
    .language:       OpenCL C
    .language_version:
      - 2
      - 0
    .max_flat_workgroup_size: 336
    .name:           fft_rtc_back_len336_factors_6_7_8_wgs_336_tpt_56_dp_op_CI_CI_sbcc_dirReg_intrinsicRead
    .private_segment_fixed_size: 0
    .sgpr_count:     57
    .sgpr_spill_count: 0
    .symbol:         fft_rtc_back_len336_factors_6_7_8_wgs_336_tpt_56_dp_op_CI_CI_sbcc_dirReg_intrinsicRead.kd
    .uniform_work_group_size: 1
    .uses_dynamic_stack: false
    .vgpr_count:     62
    .vgpr_spill_count: 0
    .wavefront_size: 32
    .workgroup_processor_mode: 1
amdhsa.target:   amdgcn-amd-amdhsa--gfx1030
amdhsa.version:
  - 1
  - 2
...

	.end_amdgpu_metadata
